;; amdgpu-corpus repo=ROCm/rocFFT kind=compiled arch=gfx1201 opt=O3
	.text
	.amdgcn_target "amdgcn-amd-amdhsa--gfx1201"
	.amdhsa_code_object_version 6
	.protected	fft_rtc_back_len198_factors_11_2_9_wgs_110_tpt_22_sp_ip_CI_unitstride_sbrr_C2R_dirReg ; -- Begin function fft_rtc_back_len198_factors_11_2_9_wgs_110_tpt_22_sp_ip_CI_unitstride_sbrr_C2R_dirReg
	.globl	fft_rtc_back_len198_factors_11_2_9_wgs_110_tpt_22_sp_ip_CI_unitstride_sbrr_C2R_dirReg
	.p2align	8
	.type	fft_rtc_back_len198_factors_11_2_9_wgs_110_tpt_22_sp_ip_CI_unitstride_sbrr_C2R_dirReg,@function
fft_rtc_back_len198_factors_11_2_9_wgs_110_tpt_22_sp_ip_CI_unitstride_sbrr_C2R_dirReg: ; @fft_rtc_back_len198_factors_11_2_9_wgs_110_tpt_22_sp_ip_CI_unitstride_sbrr_C2R_dirReg
; %bb.0:
	s_load_b128 s[4:7], s[0:1], 0x0
	v_mul_u32_u24_e32 v1, 0xba3, v0
	s_clause 0x1
	s_load_b64 s[8:9], s[0:1], 0x50
	s_load_b64 s[10:11], s[0:1], 0x18
	v_mov_b32_e32 v5, 0
	v_lshrrev_b32_e32 v1, 16, v1
	s_delay_alu instid0(VALU_DEP_1) | instskip(SKIP_3) | instid1(VALU_DEP_1)
	v_mad_co_u64_u32 v[1:2], null, ttmp9, 5, v[1:2]
	v_mov_b32_e32 v3, 0
	v_mov_b32_e32 v4, 0
	;; [unrolled: 1-line block ×4, first 2 shown]
	s_wait_kmcnt 0x0
	v_cmp_lt_u64_e64 s2, s[6:7], 2
	v_mov_b32_e32 v9, v1
	s_delay_alu instid0(VALU_DEP_2)
	s_and_b32 vcc_lo, exec_lo, s2
	s_cbranch_vccnz .LBB0_8
; %bb.1:
	s_load_b64 s[2:3], s[0:1], 0x10
	v_dual_mov_b32 v3, 0 :: v_dual_mov_b32 v8, v2
	v_dual_mov_b32 v4, 0 :: v_dual_mov_b32 v7, v1
	s_add_nc_u64 s[12:13], s[10:11], 8
	s_mov_b64 s[14:15], 1
	s_wait_kmcnt 0x0
	s_add_nc_u64 s[16:17], s[2:3], 8
	s_mov_b32 s3, 0
.LBB0_2:                                ; =>This Inner Loop Header: Depth=1
	s_load_b64 s[18:19], s[16:17], 0x0
                                        ; implicit-def: $vgpr9_vgpr10
	s_mov_b32 s2, exec_lo
	s_wait_kmcnt 0x0
	v_or_b32_e32 v6, s19, v8
	s_delay_alu instid0(VALU_DEP_1)
	v_cmpx_ne_u64_e32 0, v[5:6]
	s_wait_alu 0xfffe
	s_xor_b32 s20, exec_lo, s2
	s_cbranch_execz .LBB0_4
; %bb.3:                                ;   in Loop: Header=BB0_2 Depth=1
	s_cvt_f32_u32 s2, s18
	s_cvt_f32_u32 s21, s19
	s_sub_nc_u64 s[24:25], 0, s[18:19]
	s_wait_alu 0xfffe
	s_delay_alu instid0(SALU_CYCLE_1) | instskip(SKIP_1) | instid1(SALU_CYCLE_2)
	s_fmamk_f32 s2, s21, 0x4f800000, s2
	s_wait_alu 0xfffe
	v_s_rcp_f32 s2, s2
	s_delay_alu instid0(TRANS32_DEP_1) | instskip(SKIP_1) | instid1(SALU_CYCLE_2)
	s_mul_f32 s2, s2, 0x5f7ffffc
	s_wait_alu 0xfffe
	s_mul_f32 s21, s2, 0x2f800000
	s_wait_alu 0xfffe
	s_delay_alu instid0(SALU_CYCLE_2) | instskip(SKIP_1) | instid1(SALU_CYCLE_2)
	s_trunc_f32 s21, s21
	s_wait_alu 0xfffe
	s_fmamk_f32 s2, s21, 0xcf800000, s2
	s_cvt_u32_f32 s23, s21
	s_wait_alu 0xfffe
	s_delay_alu instid0(SALU_CYCLE_1) | instskip(SKIP_1) | instid1(SALU_CYCLE_2)
	s_cvt_u32_f32 s22, s2
	s_wait_alu 0xfffe
	s_mul_u64 s[26:27], s[24:25], s[22:23]
	s_wait_alu 0xfffe
	s_mul_hi_u32 s29, s22, s27
	s_mul_i32 s28, s22, s27
	s_mul_hi_u32 s2, s22, s26
	s_mul_i32 s30, s23, s26
	s_wait_alu 0xfffe
	s_add_nc_u64 s[28:29], s[2:3], s[28:29]
	s_mul_hi_u32 s21, s23, s26
	s_mul_hi_u32 s31, s23, s27
	s_add_co_u32 s2, s28, s30
	s_wait_alu 0xfffe
	s_add_co_ci_u32 s2, s29, s21
	s_mul_i32 s26, s23, s27
	s_add_co_ci_u32 s27, s31, 0
	s_wait_alu 0xfffe
	s_add_nc_u64 s[26:27], s[2:3], s[26:27]
	s_wait_alu 0xfffe
	v_add_co_u32 v2, s2, s22, s26
	s_delay_alu instid0(VALU_DEP_1) | instskip(SKIP_1) | instid1(VALU_DEP_1)
	s_cmp_lg_u32 s2, 0
	s_add_co_ci_u32 s23, s23, s27
	v_readfirstlane_b32 s22, v2
	s_wait_alu 0xfffe
	s_delay_alu instid0(VALU_DEP_1)
	s_mul_u64 s[24:25], s[24:25], s[22:23]
	s_wait_alu 0xfffe
	s_mul_hi_u32 s27, s22, s25
	s_mul_i32 s26, s22, s25
	s_mul_hi_u32 s2, s22, s24
	s_mul_i32 s28, s23, s24
	s_wait_alu 0xfffe
	s_add_nc_u64 s[26:27], s[2:3], s[26:27]
	s_mul_hi_u32 s21, s23, s24
	s_mul_hi_u32 s22, s23, s25
	s_wait_alu 0xfffe
	s_add_co_u32 s2, s26, s28
	s_add_co_ci_u32 s2, s27, s21
	s_mul_i32 s24, s23, s25
	s_add_co_ci_u32 s25, s22, 0
	s_wait_alu 0xfffe
	s_add_nc_u64 s[24:25], s[2:3], s[24:25]
	s_wait_alu 0xfffe
	v_add_co_u32 v2, s2, v2, s24
	s_delay_alu instid0(VALU_DEP_1) | instskip(SKIP_1) | instid1(VALU_DEP_1)
	s_cmp_lg_u32 s2, 0
	s_add_co_ci_u32 s2, s23, s25
	v_mul_hi_u32 v6, v7, v2
	s_wait_alu 0xfffe
	v_mad_co_u64_u32 v[9:10], null, v7, s2, 0
	v_mad_co_u64_u32 v[11:12], null, v8, v2, 0
	;; [unrolled: 1-line block ×3, first 2 shown]
	s_delay_alu instid0(VALU_DEP_3) | instskip(SKIP_1) | instid1(VALU_DEP_4)
	v_add_co_u32 v2, vcc_lo, v6, v9
	s_wait_alu 0xfffd
	v_add_co_ci_u32_e32 v6, vcc_lo, 0, v10, vcc_lo
	s_delay_alu instid0(VALU_DEP_2) | instskip(SKIP_1) | instid1(VALU_DEP_2)
	v_add_co_u32 v2, vcc_lo, v2, v11
	s_wait_alu 0xfffd
	v_add_co_ci_u32_e32 v2, vcc_lo, v6, v12, vcc_lo
	s_wait_alu 0xfffd
	v_add_co_ci_u32_e32 v6, vcc_lo, 0, v14, vcc_lo
	s_delay_alu instid0(VALU_DEP_2) | instskip(SKIP_1) | instid1(VALU_DEP_2)
	v_add_co_u32 v2, vcc_lo, v2, v13
	s_wait_alu 0xfffd
	v_add_co_ci_u32_e32 v6, vcc_lo, 0, v6, vcc_lo
	s_delay_alu instid0(VALU_DEP_2) | instskip(SKIP_1) | instid1(VALU_DEP_3)
	v_mul_lo_u32 v11, s19, v2
	v_mad_co_u64_u32 v[9:10], null, s18, v2, 0
	v_mul_lo_u32 v12, s18, v6
	s_delay_alu instid0(VALU_DEP_2) | instskip(NEXT) | instid1(VALU_DEP_2)
	v_sub_co_u32 v9, vcc_lo, v7, v9
	v_add3_u32 v10, v10, v12, v11
	s_delay_alu instid0(VALU_DEP_1) | instskip(SKIP_1) | instid1(VALU_DEP_1)
	v_sub_nc_u32_e32 v11, v8, v10
	s_wait_alu 0xfffd
	v_subrev_co_ci_u32_e64 v11, s2, s19, v11, vcc_lo
	v_add_co_u32 v12, s2, v2, 2
	s_wait_alu 0xf1ff
	v_add_co_ci_u32_e64 v13, s2, 0, v6, s2
	v_sub_co_u32 v14, s2, v9, s18
	v_sub_co_ci_u32_e32 v10, vcc_lo, v8, v10, vcc_lo
	s_wait_alu 0xf1ff
	v_subrev_co_ci_u32_e64 v11, s2, 0, v11, s2
	s_delay_alu instid0(VALU_DEP_3) | instskip(NEXT) | instid1(VALU_DEP_3)
	v_cmp_le_u32_e32 vcc_lo, s18, v14
	v_cmp_eq_u32_e64 s2, s19, v10
	s_wait_alu 0xfffd
	v_cndmask_b32_e64 v14, 0, -1, vcc_lo
	v_cmp_le_u32_e32 vcc_lo, s19, v11
	s_wait_alu 0xfffd
	v_cndmask_b32_e64 v15, 0, -1, vcc_lo
	v_cmp_le_u32_e32 vcc_lo, s18, v9
	;; [unrolled: 3-line block ×3, first 2 shown]
	s_wait_alu 0xfffd
	v_cndmask_b32_e64 v16, 0, -1, vcc_lo
	v_cmp_eq_u32_e32 vcc_lo, s19, v11
	s_wait_alu 0xf1ff
	s_delay_alu instid0(VALU_DEP_2)
	v_cndmask_b32_e64 v9, v16, v9, s2
	s_wait_alu 0xfffd
	v_cndmask_b32_e32 v11, v15, v14, vcc_lo
	v_add_co_u32 v14, vcc_lo, v2, 1
	s_wait_alu 0xfffd
	v_add_co_ci_u32_e32 v15, vcc_lo, 0, v6, vcc_lo
	s_delay_alu instid0(VALU_DEP_3) | instskip(SKIP_1) | instid1(VALU_DEP_2)
	v_cmp_ne_u32_e32 vcc_lo, 0, v11
	s_wait_alu 0xfffd
	v_dual_cndmask_b32 v10, v15, v13 :: v_dual_cndmask_b32 v11, v14, v12
	v_cmp_ne_u32_e32 vcc_lo, 0, v9
	s_wait_alu 0xfffd
	s_delay_alu instid0(VALU_DEP_2) | instskip(NEXT) | instid1(VALU_DEP_3)
	v_cndmask_b32_e32 v10, v6, v10, vcc_lo
	v_cndmask_b32_e32 v9, v2, v11, vcc_lo
.LBB0_4:                                ;   in Loop: Header=BB0_2 Depth=1
	s_wait_alu 0xfffe
	s_and_not1_saveexec_b32 s2, s20
	s_cbranch_execz .LBB0_6
; %bb.5:                                ;   in Loop: Header=BB0_2 Depth=1
	v_cvt_f32_u32_e32 v2, s18
	s_sub_co_i32 s20, 0, s18
	s_delay_alu instid0(VALU_DEP_1) | instskip(NEXT) | instid1(TRANS32_DEP_1)
	v_rcp_iflag_f32_e32 v2, v2
	v_mul_f32_e32 v2, 0x4f7ffffe, v2
	s_delay_alu instid0(VALU_DEP_1) | instskip(SKIP_1) | instid1(VALU_DEP_1)
	v_cvt_u32_f32_e32 v2, v2
	s_wait_alu 0xfffe
	v_mul_lo_u32 v6, s20, v2
	s_delay_alu instid0(VALU_DEP_1) | instskip(NEXT) | instid1(VALU_DEP_1)
	v_mul_hi_u32 v6, v2, v6
	v_add_nc_u32_e32 v2, v2, v6
	s_delay_alu instid0(VALU_DEP_1) | instskip(NEXT) | instid1(VALU_DEP_1)
	v_mul_hi_u32 v2, v7, v2
	v_mul_lo_u32 v6, v2, s18
	v_add_nc_u32_e32 v9, 1, v2
	s_delay_alu instid0(VALU_DEP_2) | instskip(NEXT) | instid1(VALU_DEP_1)
	v_sub_nc_u32_e32 v6, v7, v6
	v_subrev_nc_u32_e32 v10, s18, v6
	v_cmp_le_u32_e32 vcc_lo, s18, v6
	s_wait_alu 0xfffd
	s_delay_alu instid0(VALU_DEP_2) | instskip(SKIP_2) | instid1(VALU_DEP_3)
	v_cndmask_b32_e32 v6, v6, v10, vcc_lo
	v_mov_b32_e32 v10, v5
	v_cndmask_b32_e32 v2, v2, v9, vcc_lo
	v_cmp_le_u32_e32 vcc_lo, s18, v6
	s_delay_alu instid0(VALU_DEP_2) | instskip(SKIP_1) | instid1(VALU_DEP_1)
	v_add_nc_u32_e32 v9, 1, v2
	s_wait_alu 0xfffd
	v_cndmask_b32_e32 v9, v2, v9, vcc_lo
.LBB0_6:                                ;   in Loop: Header=BB0_2 Depth=1
	s_wait_alu 0xfffe
	s_or_b32 exec_lo, exec_lo, s2
	s_load_b64 s[20:21], s[12:13], 0x0
	v_mul_lo_u32 v2, v10, s18
	v_mul_lo_u32 v6, v9, s19
	v_mad_co_u64_u32 v[11:12], null, v9, s18, 0
	s_add_nc_u64 s[14:15], s[14:15], 1
	s_add_nc_u64 s[12:13], s[12:13], 8
	s_wait_alu 0xfffe
	v_cmp_ge_u64_e64 s2, s[14:15], s[6:7]
	s_add_nc_u64 s[16:17], s[16:17], 8
	s_delay_alu instid0(VALU_DEP_2) | instskip(NEXT) | instid1(VALU_DEP_3)
	v_add3_u32 v2, v12, v6, v2
	v_sub_co_u32 v6, vcc_lo, v7, v11
	s_wait_alu 0xfffd
	s_delay_alu instid0(VALU_DEP_2) | instskip(SKIP_3) | instid1(VALU_DEP_2)
	v_sub_co_ci_u32_e32 v2, vcc_lo, v8, v2, vcc_lo
	s_and_b32 vcc_lo, exec_lo, s2
	s_wait_kmcnt 0x0
	v_mul_lo_u32 v7, s21, v6
	v_mul_lo_u32 v2, s20, v2
	v_mad_co_u64_u32 v[3:4], null, s20, v6, v[3:4]
	s_delay_alu instid0(VALU_DEP_1)
	v_add3_u32 v4, v7, v4, v2
	s_wait_alu 0xfffe
	s_cbranch_vccnz .LBB0_8
; %bb.7:                                ;   in Loop: Header=BB0_2 Depth=1
	v_dual_mov_b32 v7, v9 :: v_dual_mov_b32 v8, v10
	s_branch .LBB0_2
.LBB0_8:
	s_lshl_b64 s[2:3], s[6:7], 3
	v_mul_hi_u32 v2, 0xcccccccd, v1
	s_wait_alu 0xfffe
	s_add_nc_u64 s[2:3], s[10:11], s[2:3]
	s_load_b64 s[0:1], s[0:1], 0x20
	s_load_b64 s[2:3], s[2:3], 0x0
	v_mul_hi_u32 v5, 0xba2e8bb, v0
	s_delay_alu instid0(VALU_DEP_2) | instskip(NEXT) | instid1(VALU_DEP_2)
	v_lshrrev_b32_e32 v2, 2, v2
	v_mul_u32_u24_e32 v5, 22, v5
	s_delay_alu instid0(VALU_DEP_2) | instskip(NEXT) | instid1(VALU_DEP_2)
	v_lshl_add_u32 v6, v2, 2, v2
	v_sub_nc_u32_e32 v24, v0, v5
	s_delay_alu instid0(VALU_DEP_2)
	v_sub_nc_u32_e32 v1, v1, v6
	s_wait_kmcnt 0x0
	v_cmp_gt_u64_e32 vcc_lo, s[0:1], v[9:10]
	v_mul_lo_u32 v7, s2, v10
	v_mul_lo_u32 v8, s3, v9
	v_mad_co_u64_u32 v[2:3], null, s2, v9, v[3:4]
	v_mul_u32_u24_e32 v4, 0xc7, v1
	s_delay_alu instid0(VALU_DEP_1) | instskip(NEXT) | instid1(VALU_DEP_3)
	v_lshlrev_b32_e32 v32, 3, v4
	v_add3_u32 v3, v8, v3, v7
	s_delay_alu instid0(VALU_DEP_1)
	v_lshlrev_b64_e32 v[26:27], 3, v[2:3]
	s_and_saveexec_b32 s1, vcc_lo
	s_cbranch_execz .LBB0_12
; %bb.9:
	v_mov_b32_e32 v25, 0
	s_delay_alu instid0(VALU_DEP_2) | instskip(SKIP_2) | instid1(VALU_DEP_3)
	v_add_co_u32 v0, s0, s8, v26
	s_wait_alu 0xf1ff
	v_add_co_ci_u32_e64 v1, s0, s9, v27, s0
	v_lshlrev_b64_e32 v[2:3], 3, v[24:25]
	s_mov_b32 s2, exec_lo
	s_delay_alu instid0(VALU_DEP_1) | instskip(SKIP_1) | instid1(VALU_DEP_2)
	v_add_co_u32 v2, s0, v0, v2
	s_wait_alu 0xf1ff
	v_add_co_ci_u32_e64 v3, s0, v1, v3, s0
	s_clause 0x8
	global_load_b64 v[5:6], v[2:3], off
	global_load_b64 v[7:8], v[2:3], off offset:176
	global_load_b64 v[9:10], v[2:3], off offset:352
	;; [unrolled: 1-line block ×8, first 2 shown]
	v_lshlrev_b32_e32 v2, 3, v24
	s_delay_alu instid0(VALU_DEP_1)
	v_add3_u32 v2, 0, v32, v2
	s_wait_loadcnt 0x7
	ds_store_2addr_b64 v2, v[5:6], v[7:8] offset1:22
	s_wait_loadcnt 0x5
	ds_store_2addr_b64 v2, v[9:10], v[11:12] offset0:44 offset1:66
	s_wait_loadcnt 0x3
	ds_store_2addr_b64 v2, v[13:14], v[15:16] offset0:88 offset1:110
	;; [unrolled: 2-line block ×3, first 2 shown]
	s_wait_loadcnt 0x0
	ds_store_b64 v2, v[21:22] offset:1408
	v_cmpx_eq_u32_e32 21, v24
	s_cbranch_execz .LBB0_11
; %bb.10:
	global_load_b64 v[0:1], v[0:1], off offset:1584
	v_mov_b32_e32 v24, 21
	s_wait_loadcnt 0x0
	ds_store_b64 v2, v[0:1] offset:1416
.LBB0_11:
	s_wait_alu 0xfffe
	s_or_b32 exec_lo, exec_lo, s2
.LBB0_12:
	s_wait_alu 0xfffe
	s_or_b32 exec_lo, exec_lo, s1
	v_lshl_add_u32 v31, v4, 3, 0
	v_lshlrev_b32_e32 v28, 3, v24
	global_wb scope:SCOPE_SE
	s_wait_dscnt 0x0
	s_barrier_signal -1
	s_barrier_wait -1
	global_inv scope:SCOPE_SE
	v_add_nc_u32_e32 v33, v31, v28
	v_sub_nc_u32_e32 v5, v31, v28
	s_mov_b32 s1, exec_lo
                                        ; implicit-def: $vgpr2_vgpr3
	ds_load_b32 v6, v33
	ds_load_b32 v7, v5 offset:1584
	s_wait_dscnt 0x0
	v_dual_sub_f32 v1, v6, v7 :: v_dual_add_f32 v0, v7, v6
	v_cmpx_ne_u32_e32 0, v24
	s_wait_alu 0xfffe
	s_xor_b32 s1, exec_lo, s1
	s_cbranch_execz .LBB0_14
; %bb.13:
	v_dual_mov_b32 v25, 0 :: v_dual_add_f32 v8, v7, v6
	s_delay_alu instid0(VALU_DEP_1) | instskip(NEXT) | instid1(VALU_DEP_1)
	v_lshlrev_b64_e32 v[0:1], 3, v[24:25]
	v_add_co_u32 v0, s0, s4, v0
	s_wait_alu 0xf1ff
	s_delay_alu instid0(VALU_DEP_2)
	v_add_co_ci_u32_e64 v1, s0, s5, v1, s0
	global_load_b64 v[2:3], v[0:1], off offset:1496
	ds_load_b32 v0, v5 offset:1588
	ds_load_b32 v1, v33 offset:4
	s_wait_dscnt 0x0
	v_dual_sub_f32 v9, v6, v7 :: v_dual_add_f32 v10, v0, v1
	v_sub_f32_e32 v0, v1, v0
	s_wait_loadcnt 0x0
	s_delay_alu instid0(VALU_DEP_2) | instskip(NEXT) | instid1(VALU_DEP_2)
	v_fma_f32 v6, -v9, v3, v8
	v_fma_f32 v7, v10, v3, -v0
	v_fma_f32 v11, v9, v3, v8
	v_fma_f32 v1, v10, v3, v0
	s_delay_alu instid0(VALU_DEP_4) | instskip(NEXT) | instid1(VALU_DEP_4)
	v_fmac_f32_e32 v6, v2, v10
	v_fmac_f32_e32 v7, v9, v2
	s_delay_alu instid0(VALU_DEP_4) | instskip(NEXT) | instid1(VALU_DEP_4)
	v_fma_f32 v0, -v2, v10, v11
	v_dual_fmac_f32 v1, v9, v2 :: v_dual_mov_b32 v2, v24
	v_mov_b32_e32 v3, v25
	ds_store_b64 v5, v[6:7] offset:1584
.LBB0_14:
	s_wait_alu 0xfffe
	s_and_not1_saveexec_b32 s0, s1
	s_cbranch_execz .LBB0_16
; %bb.15:
	ds_load_b64 v[2:3], v31 offset:792
	s_wait_dscnt 0x0
	v_dual_add_f32 v6, v2, v2 :: v_dual_mul_f32 v7, -2.0, v3
	v_mov_b32_e32 v2, 0
	v_mov_b32_e32 v3, 0
	ds_store_b64 v31, v[6:7] offset:792
.LBB0_16:
	s_wait_alu 0xfffe
	s_or_b32 exec_lo, exec_lo, s0
	v_lshlrev_b64_e32 v[2:3], 3, v[2:3]
	s_add_nc_u64 s[0:1], s[4:5], 0x5d8
	s_wait_alu 0xfffe
	s_delay_alu instid0(VALU_DEP_1) | instskip(SKIP_1) | instid1(VALU_DEP_2)
	v_add_co_u32 v2, s0, s0, v2
	s_wait_alu 0xf1ff
	v_add_co_ci_u32_e64 v3, s0, s1, v3, s0
	v_cmp_gt_u32_e64 s0, 11, v24
	s_clause 0x2
	global_load_b64 v[6:7], v[2:3], off offset:176
	global_load_b64 v[8:9], v[2:3], off offset:352
	;; [unrolled: 1-line block ×3, first 2 shown]
	ds_store_b64 v33, v[0:1]
	ds_load_b64 v[0:1], v33 offset:176
	ds_load_b64 v[12:13], v5 offset:1408
	s_wait_dscnt 0x0
	v_dual_add_f32 v14, v0, v12 :: v_dual_add_f32 v15, v13, v1
	v_sub_f32_e32 v16, v0, v12
	v_sub_f32_e32 v0, v1, v13
	s_wait_loadcnt 0x2
	s_delay_alu instid0(VALU_DEP_1) | instskip(NEXT) | instid1(VALU_DEP_3)
	v_fma_f32 v1, v15, v7, v0
	v_fma_f32 v17, v16, v7, v14
	v_fma_f32 v12, -v16, v7, v14
	s_delay_alu instid0(VALU_DEP_3) | instskip(SKIP_1) | instid1(VALU_DEP_4)
	v_fmac_f32_e32 v1, v16, v6
	v_fma_f32 v13, v15, v7, -v0
	v_fma_f32 v0, -v6, v15, v17
	s_delay_alu instid0(VALU_DEP_2)
	v_dual_fmac_f32 v12, v6, v15 :: v_dual_fmac_f32 v13, v16, v6
	ds_store_b64 v33, v[0:1] offset:176
	ds_store_b64 v5, v[12:13] offset:1408
	ds_load_b64 v[0:1], v33 offset:352
	ds_load_b64 v[6:7], v5 offset:1232
	s_wait_dscnt 0x0
	v_dual_add_f32 v13, v7, v1 :: v_dual_sub_f32 v14, v0, v6
	v_add_f32_e32 v12, v0, v6
	v_sub_f32_e32 v0, v1, v7
	s_wait_loadcnt 0x1
	s_delay_alu instid0(VALU_DEP_1) | instskip(NEXT) | instid1(VALU_DEP_1)
	v_fma_f32 v7, v13, v9, -v0
	v_fmac_f32_e32 v7, v14, v8
	v_fma_f32 v1, v13, v9, v0
	s_delay_alu instid0(VALU_DEP_1) | instskip(SKIP_2) | instid1(VALU_DEP_2)
	v_fmac_f32_e32 v1, v14, v8
	v_fma_f32 v15, v14, v9, v12
	v_fma_f32 v6, -v14, v9, v12
	v_fma_f32 v0, -v8, v13, v15
	s_delay_alu instid0(VALU_DEP_2)
	v_fmac_f32_e32 v6, v8, v13
	ds_store_b64 v33, v[0:1] offset:352
	ds_store_b64 v5, v[6:7] offset:1232
	ds_load_b64 v[0:1], v33 offset:528
	ds_load_b64 v[6:7], v5 offset:1056
	s_wait_dscnt 0x0
	v_dual_add_f32 v8, v0, v6 :: v_dual_add_f32 v9, v7, v1
	v_sub_f32_e32 v12, v0, v6
	v_sub_f32_e32 v0, v1, v7
	s_wait_loadcnt 0x0
	s_delay_alu instid0(VALU_DEP_2) | instskip(NEXT) | instid1(VALU_DEP_2)
	v_fma_f32 v13, v12, v11, v8
	v_fma_f32 v1, v9, v11, v0
	v_fma_f32 v6, -v12, v11, v8
	s_delay_alu instid0(VALU_DEP_2) | instskip(SKIP_2) | instid1(VALU_DEP_2)
	v_fmac_f32_e32 v1, v12, v10
	v_fma_f32 v7, v9, v11, -v0
	v_fma_f32 v0, -v10, v9, v13
	v_dual_fmac_f32 v6, v10, v9 :: v_dual_fmac_f32 v7, v12, v10
	ds_store_b64 v33, v[0:1] offset:528
	ds_store_b64 v5, v[6:7] offset:1056
	s_and_saveexec_b32 s1, s0
	s_cbranch_execz .LBB0_18
; %bb.17:
	global_load_b64 v[0:1], v[2:3], off offset:704
	ds_load_b64 v[2:3], v33 offset:704
	ds_load_b64 v[6:7], v5 offset:880
	s_wait_dscnt 0x0
	v_dual_add_f32 v8, v2, v6 :: v_dual_add_f32 v9, v7, v3
	v_dual_sub_f32 v10, v2, v6 :: v_dual_sub_f32 v3, v3, v7
	s_wait_loadcnt 0x0
	s_delay_alu instid0(VALU_DEP_1) | instskip(NEXT) | instid1(VALU_DEP_2)
	v_fma_f32 v11, v10, v1, v8
	v_fma_f32 v2, v9, v1, v3
	v_fma_f32 v6, -v10, v1, v8
	v_fma_f32 v7, v9, v1, -v3
	s_delay_alu instid0(VALU_DEP_4) | instskip(NEXT) | instid1(VALU_DEP_4)
	v_fma_f32 v1, -v0, v9, v11
	v_fmac_f32_e32 v2, v10, v0
	s_delay_alu instid0(VALU_DEP_3)
	v_dual_fmac_f32 v6, v0, v9 :: v_dual_fmac_f32 v7, v10, v0
	ds_store_b64 v33, v[1:2] offset:704
	ds_store_b64 v5, v[6:7] offset:880
.LBB0_18:
	s_wait_alu 0xfffe
	s_or_b32 exec_lo, exec_lo, s1
	v_lshl_add_u32 v34, v24, 3, 0
	global_wb scope:SCOPE_SE
	s_wait_dscnt 0x0
	s_barrier_signal -1
	s_barrier_wait -1
	global_inv scope:SCOPE_SE
	v_lshl_add_u32 v25, v4, 3, v34
	global_wb scope:SCOPE_SE
	s_barrier_signal -1
	s_barrier_wait -1
	global_inv scope:SCOPE_SE
	ds_load_2addr_b64 v[16:19], v25 offset0:18 offset1:36
	ds_load_2addr_b64 v[4:7], v25 offset0:162 offset1:180
	;; [unrolled: 1-line block ×4, first 2 shown]
	ds_load_b64 v[29:30], v33
	ds_load_2addr_b64 v[12:15], v25 offset0:90 offset1:108
	s_mov_b32 s2, exec_lo
	global_wb scope:SCOPE_SE
	s_wait_dscnt 0x0
	s_barrier_signal -1
	s_barrier_wait -1
	global_inv scope:SCOPE_SE
	v_dual_sub_f32 v38, v16, v6 :: v_dual_sub_f32 v45, v17, v7
	v_dual_add_f32 v35, v6, v16 :: v_dual_add_f32 v54, v7, v17
	v_dual_sub_f32 v37, v18, v4 :: v_dual_sub_f32 v46, v19, v5
	s_delay_alu instid0(VALU_DEP_3) | instskip(SKIP_2) | instid1(VALU_DEP_4)
	v_dual_mul_f32 v59, 0xbf68dda4, v45 :: v_dual_add_f32 v36, v4, v18
	v_add_f32_e32 v49, v5, v19
	v_dual_add_f32 v39, v10, v20 :: v_dual_add_f32 v50, v11, v21
	v_mul_f32_e32 v58, 0xbf4178ce, v46
	s_delay_alu instid0(VALU_DEP_4) | instskip(SKIP_1) | instid1(VALU_DEP_4)
	v_fma_f32 v0, 0x3ed4b147, v35, -v59
	v_mul_f32_e32 v64, 0x3ed4b147, v54
	v_dual_mul_f32 v70, 0xbf75a155, v49 :: v_dual_mul_f32 v61, 0xbf75a155, v50
	s_delay_alu instid0(VALU_DEP_4) | instskip(NEXT) | instid1(VALU_DEP_4)
	v_fma_f32 v41, 0xbf27a4f4, v36, -v58
	v_dual_add_f32 v0, v29, v0 :: v_dual_mul_f32 v71, 0xbe11bafb, v54
	s_delay_alu instid0(VALU_DEP_3) | instskip(SKIP_1) | instid1(VALU_DEP_3)
	v_dual_mul_f32 v65, 0x3e903f40, v46 :: v_dual_fmamk_f32 v44, v37, 0x3e903f40, v70
	v_dual_sub_f32 v40, v20, v10 :: v_dual_sub_f32 v47, v21, v11
	v_add_f32_e32 v0, v41, v0
	s_delay_alu instid0(VALU_DEP_4) | instskip(NEXT) | instid1(VALU_DEP_4)
	v_dual_mul_f32 v66, 0xbf7d64f0, v45 :: v_dual_fmamk_f32 v3, v38, 0xbf7d64f0, v71
	v_fma_f32 v43, 0xbf75a155, v36, -v65
	s_delay_alu instid0(VALU_DEP_4) | instskip(SKIP_1) | instid1(VALU_DEP_4)
	v_mul_f32_e32 v53, 0x3e903f40, v47
	v_dual_mul_f32 v67, 0x3f68dda4, v47 :: v_dual_sub_f32 v48, v23, v9
	v_fma_f32 v2, 0xbe11bafb, v35, -v66
	v_mul_f32_e32 v63, 0xbf27a4f4, v49
	v_add_f32_e32 v3, v30, v3
	v_add_f32_e32 v52, v9, v23
	v_mul_f32_e32 v72, 0x3ed4b147, v50
	v_dual_add_f32 v2, v29, v2 :: v_dual_fmamk_f32 v1, v38, 0xbf68dda4, v64
	s_delay_alu instid0(VALU_DEP_4) | instskip(NEXT) | instid1(VALU_DEP_3)
	v_dual_fmamk_f32 v42, v37, 0xbf4178ce, v63 :: v_dual_add_f32 v3, v44, v3
	v_fmamk_f32 v44, v40, 0x3f68dda4, v72
	s_delay_alu instid0(VALU_DEP_3) | instskip(SKIP_1) | instid1(VALU_DEP_3)
	v_dual_add_f32 v2, v43, v2 :: v_dual_add_f32 v1, v30, v1
	v_fma_f32 v43, 0x3ed4b147, v39, -v67
	v_add_f32_e32 v3, v44, v3
	s_delay_alu instid0(VALU_DEP_3) | instskip(SKIP_1) | instid1(VALU_DEP_4)
	v_dual_add_f32 v1, v42, v1 :: v_dual_fmamk_f32 v42, v40, 0x3e903f40, v61
	v_fma_f32 v41, 0xbf75a155, v39, -v53
	v_add_f32_e32 v2, v43, v2
	s_delay_alu instid0(VALU_DEP_2) | instskip(SKIP_4) | instid1(VALU_DEP_3)
	v_dual_add_f32 v0, v41, v0 :: v_dual_add_f32 v1, v42, v1
	v_dual_add_f32 v41, v8, v22 :: v_dual_sub_f32 v42, v22, v8
	v_mul_f32_e32 v62, 0xbe11bafb, v52
	v_mul_f32_e32 v56, 0x3f7d64f0, v48
	;; [unrolled: 1-line block ×3, first 2 shown]
	v_fmamk_f32 v43, v42, 0x3f7d64f0, v62
	s_delay_alu instid0(VALU_DEP_3) | instskip(NEXT) | instid1(VALU_DEP_2)
	v_fma_f32 v51, 0xbe11bafb, v41, -v56
	v_add_f32_e32 v1, v43, v1
	v_add_f32_e32 v43, v14, v12
	v_mul_f32_e32 v68, 0xbf0a6770, v48
	s_delay_alu instid0(VALU_DEP_4) | instskip(SKIP_1) | instid1(VALU_DEP_3)
	v_dual_add_f32 v0, v51, v0 :: v_dual_sub_f32 v51, v13, v15
	v_sub_f32_e32 v44, v12, v14
	v_fma_f32 v55, 0x3f575c64, v41, -v68
	s_delay_alu instid0(VALU_DEP_3) | instskip(SKIP_1) | instid1(VALU_DEP_3)
	v_mul_f32_e32 v69, 0xbf4178ce, v51
	v_mul_f32_e32 v57, 0x3f0a6770, v51
	v_add_f32_e32 v75, v55, v2
	v_dual_add_f32 v55, v15, v13 :: v_dual_fmamk_f32 v2, v42, 0xbf0a6770, v74
	s_delay_alu instid0(VALU_DEP_4) | instskip(NEXT) | instid1(VALU_DEP_2)
	v_fma_f32 v77, 0xbf27a4f4, v43, -v69
	v_add_f32_e32 v76, v2, v3
	v_fma_f32 v2, 0x3f575c64, v43, -v57
	s_delay_alu instid0(VALU_DEP_1) | instskip(NEXT) | instid1(VALU_DEP_1)
	v_dual_mul_f32 v73, 0xbf27a4f4, v55 :: v_dual_add_f32 v2, v2, v0
	v_fmamk_f32 v78, v44, 0xbf4178ce, v73
	v_mul_f32_e32 v60, 0x3f575c64, v55
	s_delay_alu instid0(VALU_DEP_1) | instskip(NEXT) | instid1(VALU_DEP_1)
	v_dual_add_f32 v0, v77, v75 :: v_dual_fmamk_f32 v3, v44, 0x3f0a6770, v60
	v_add_f32_e32 v3, v3, v1
	s_delay_alu instid0(VALU_DEP_4)
	v_add_f32_e32 v1, v78, v76
	v_cmpx_gt_u32_e32 18, v24
	s_cbranch_execz .LBB0_20
; %bb.19:
	v_mul_f32_e32 v88, 0xbf27a4f4, v54
	v_mul_f32_e32 v83, 0x3f0a6770, v46
	;; [unrolled: 1-line block ×5, first 2 shown]
	v_fmamk_f32 v90, v38, 0x3f4178ce, v88
	v_mul_f32_e32 v85, 0xbf4178ce, v47
	v_mul_f32_e32 v101, 0xbe11bafb, v35
	;; [unrolled: 1-line block ×4, first 2 shown]
	v_dual_add_f32 v90, v30, v90 :: v_dual_fmamk_f32 v87, v36, 0x3f575c64, v83
	v_mul_f32_e32 v81, 0xbe903f40, v45
	v_mul_f32_e32 v77, 0xbf75a155, v54
	v_dual_fmamk_f32 v89, v39, 0xbf27a4f4, v85 :: v_dual_add_f32 v66, v101, v66
	v_sub_f32_e32 v70, v70, v100
	s_delay_alu instid0(VALU_DEP_4) | instskip(SKIP_1) | instid1(VALU_DEP_4)
	v_fmamk_f32 v84, v35, 0xbf75a155, v81
	v_mul_f32_e32 v79, 0xbf27a4f4, v50
	v_dual_add_f32 v17, v30, v17 :: v_dual_add_f32 v66, v29, v66
	s_delay_alu instid0(VALU_DEP_3) | instskip(NEXT) | instid1(VALU_DEP_1)
	v_dual_mul_f32 v45, 0xbf0a6770, v45 :: v_dual_add_f32 v84, v29, v84
	v_dual_add_f32 v17, v17, v19 :: v_dual_add_f32 v84, v87, v84
	v_fmamk_f32 v75, v38, 0x3e903f40, v77
	v_mul_f32_e32 v87, 0xbe11bafb, v49
	s_delay_alu instid0(VALU_DEP_3) | instskip(NEXT) | instid1(VALU_DEP_4)
	v_dual_fmamk_f32 v94, v44, 0x3f7d64f0, v82 :: v_dual_add_f32 v17, v17, v21
	v_add_f32_e32 v84, v89, v84
	s_delay_alu instid0(VALU_DEP_4) | instskip(SKIP_1) | instid1(VALU_DEP_4)
	v_dual_mul_f32 v78, 0x3f575c64, v49 :: v_dual_add_f32 v75, v30, v75
	v_mul_f32_e32 v89, 0xbf7d64f0, v51
	v_add_f32_e32 v17, v17, v23
	v_mul_f32_e32 v21, 0xbf68dda4, v46
	v_fmac_f32_e32 v77, 0xbe903f40, v38
	s_delay_alu instid0(VALU_DEP_4)
	v_fmamk_f32 v95, v43, 0xbe11bafb, v89
	v_fmamk_f32 v86, v40, 0x3f4178ce, v79
	;; [unrolled: 1-line block ×3, first 2 shown]
	v_dual_mul_f32 v80, 0x3ed4b147, v52 :: v_dual_fmamk_f32 v23, v36, 0x3ed4b147, v21
	v_add_f32_e32 v16, v29, v16
	v_add_f32_e32 v13, v17, v13
	s_delay_alu instid0(VALU_DEP_3) | instskip(NEXT) | instid1(VALU_DEP_3)
	v_dual_add_f32 v75, v76, v75 :: v_dual_fmamk_f32 v76, v42, 0xbf68dda4, v80
	v_dual_mul_f32 v17, 0xbf7d64f0, v47 :: v_dual_add_f32 v16, v16, v18
	s_delay_alu instid0(VALU_DEP_3) | instskip(NEXT) | instid1(VALU_DEP_3)
	v_add_f32_e32 v13, v13, v15
	v_dual_add_f32 v75, v86, v75 :: v_dual_mul_f32 v86, 0x3f68dda4, v48
	s_delay_alu instid0(VALU_DEP_2) | instskip(NEXT) | instid1(VALU_DEP_2)
	v_dual_add_f32 v16, v16, v20 :: v_dual_add_f32 v9, v13, v9
	v_dual_add_f32 v75, v76, v75 :: v_dual_fmamk_f32 v76, v41, 0x3ed4b147, v86
	s_delay_alu instid0(VALU_DEP_2) | instskip(NEXT) | instid1(VALU_DEP_2)
	v_dual_fmamk_f32 v91, v37, 0xbf7d64f0, v87 :: v_dual_add_f32 v16, v16, v22
	v_dual_add_f32 v9, v9, v11 :: v_dual_add_f32 v84, v76, v84
	s_delay_alu instid0(VALU_DEP_1) | instskip(NEXT) | instid1(VALU_DEP_1)
	v_dual_fmamk_f32 v76, v35, 0xbf27a4f4, v92 :: v_dual_add_f32 v5, v9, v5
	v_dual_add_f32 v9, v30, v77 :: v_dual_add_f32 v98, v29, v76
	v_add_f32_e32 v76, v94, v75
	v_mul_f32_e32 v94, 0xbf0a6770, v47
	v_add_f32_e32 v90, v91, v90
	v_add_f32_e32 v75, v95, v84
	s_delay_alu instid0(VALU_DEP_3) | instskip(SKIP_4) | instid1(VALU_DEP_3)
	v_fmamk_f32 v95, v39, 0x3f575c64, v94
	v_fmamk_f32 v99, v36, 0xbe11bafb, v96
	;; [unrolled: 1-line block ×3, first 2 shown]
	v_mul_f32_e32 v97, 0xbf75a155, v52
	v_mul_f32_e32 v52, 0xbf27a4f4, v52
	v_add_f32_e32 v84, v91, v90
	v_mul_f32_e32 v91, 0xbf7d64f0, v38
	s_delay_alu instid0(VALU_DEP_3) | instskip(NEXT) | instid1(VALU_DEP_2)
	v_dual_add_f32 v90, v99, v98 :: v_dual_fmamk_f32 v19, v42, 0x3f4178ce, v52
	v_dual_fmac_f32 v52, 0xbf4178ce, v42 :: v_dual_sub_f32 v71, v71, v91
	s_delay_alu instid0(VALU_DEP_2) | instskip(NEXT) | instid1(VALU_DEP_2)
	v_dual_add_f32 v90, v95, v90 :: v_dual_mul_f32 v95, 0x3f68dda4, v40
	v_add_f32_e32 v71, v30, v71
	s_delay_alu instid0(VALU_DEP_1) | instskip(NEXT) | instid1(VALU_DEP_3)
	v_add_f32_e32 v70, v70, v71
	v_dual_sub_f32 v71, v72, v95 :: v_dual_mul_f32 v72, 0xbf0a6770, v42
	s_delay_alu instid0(VALU_DEP_1) | instskip(NEXT) | instid1(VALU_DEP_2)
	v_add_f32_e32 v102, v71, v70
	v_sub_f32_e32 v72, v74, v72
	v_mul_f32_e32 v74, 0xbf75a155, v36
	s_delay_alu instid0(VALU_DEP_1) | instskip(SKIP_1) | instid1(VALU_DEP_2)
	v_dual_add_f32 v72, v72, v102 :: v_dual_add_f32 v65, v74, v65
	v_mul_f32_e32 v74, 0xbf68dda4, v38
	v_dual_add_f32 v65, v65, v66 :: v_dual_mul_f32 v98, 0xbe903f40, v48
	s_delay_alu instid0(VALU_DEP_1) | instskip(SKIP_2) | instid1(VALU_DEP_3)
	v_dual_sub_f32 v64, v64, v74 :: v_dual_fmamk_f32 v91, v41, 0xbf75a155, v98
	v_fmamk_f32 v99, v42, 0x3e903f40, v97
	v_fmac_f32_e32 v97, 0xbe903f40, v42
	v_add_f32_e32 v90, v91, v90
	s_delay_alu instid0(VALU_DEP_3) | instskip(SKIP_2) | instid1(VALU_DEP_3)
	v_dual_add_f32 v84, v99, v84 :: v_dual_mul_f32 v99, 0x3f68dda4, v51
	v_mul_f32_e32 v91, 0x3ed4b147, v55
	v_fmac_f32_e32 v93, 0xbf0a6770, v40
	v_fmamk_f32 v100, v43, 0x3ed4b147, v99
	s_delay_alu instid0(VALU_DEP_3) | instskip(NEXT) | instid1(VALU_DEP_2)
	v_fmamk_f32 v95, v44, 0xbf68dda4, v91
	v_dual_fmac_f32 v91, 0x3f68dda4, v44 :: v_dual_add_f32 v70, v100, v90
	s_delay_alu instid0(VALU_DEP_2) | instskip(NEXT) | instid1(VALU_DEP_1)
	v_dual_mul_f32 v90, 0x3ed4b147, v39 :: v_dual_add_f32 v71, v95, v84
	v_dual_add_f32 v66, v90, v67 :: v_dual_mul_f32 v67, 0x3f575c64, v41
	s_delay_alu instid0(VALU_DEP_1) | instskip(NEXT) | instid1(VALU_DEP_2)
	v_dual_add_f32 v65, v66, v65 :: v_dual_mul_f32 v66, 0x3e903f40, v40
	v_add_f32_e32 v67, v67, v68
	s_delay_alu instid0(VALU_DEP_2) | instskip(NEXT) | instid1(VALU_DEP_2)
	v_dual_mul_f32 v84, 0xbf4178ce, v44 :: v_dual_sub_f32 v61, v61, v66
	v_add_f32_e32 v65, v67, v65
	s_delay_alu instid0(VALU_DEP_2) | instskip(SKIP_3) | instid1(VALU_DEP_4)
	v_dual_sub_f32 v73, v73, v84 :: v_dual_mul_f32 v84, 0xbf4178ce, v37
	v_dual_mul_f32 v67, 0xbe11bafb, v41 :: v_dual_add_f32 v64, v30, v64
	v_mul_f32_e32 v66, 0xbf75a155, v39
	v_mul_f32_e32 v68, 0xbf27a4f4, v36
	v_sub_f32_e32 v63, v63, v84
	s_delay_alu instid0(VALU_DEP_3) | instskip(NEXT) | instid1(VALU_DEP_2)
	v_dual_mul_f32 v84, 0x3f0a6770, v44 :: v_dual_add_f32 v53, v66, v53
	v_dual_mul_f32 v66, 0xbe11bafb, v50 :: v_dual_add_f32 v63, v63, v64
	s_delay_alu instid0(VALU_DEP_1) | instskip(SKIP_2) | instid1(VALU_DEP_1)
	v_dual_sub_f32 v60, v60, v84 :: v_dual_add_f32 v61, v61, v63
	v_dual_mul_f32 v63, 0x3f575c64, v43 :: v_dual_add_f32 v68, v68, v58
	v_mul_f32_e32 v64, 0xbf27a4f4, v43
	v_dual_add_f32 v64, v64, v69 :: v_dual_mul_f32 v69, 0x3f7d64f0, v42
	s_delay_alu instid0(VALU_DEP_1) | instskip(NEXT) | instid1(VALU_DEP_2)
	v_add_f32_e32 v58, v64, v65
	v_sub_f32_e32 v62, v62, v69
	v_mul_f32_e32 v74, 0x3ed4b147, v35
	v_mul_f32_e32 v64, 0x3ed4b147, v49
	s_delay_alu instid0(VALU_DEP_3) | instskip(NEXT) | instid1(VALU_DEP_2)
	v_add_f32_e32 v61, v62, v61
	v_dual_add_f32 v74, v74, v59 :: v_dual_fmamk_f32 v65, v37, 0x3f68dda4, v64
	s_delay_alu instid0(VALU_DEP_2) | instskip(NEXT) | instid1(VALU_DEP_2)
	v_dual_add_f32 v59, v73, v72 :: v_dual_add_f32 v50, v60, v61
	v_dual_add_f32 v69, v29, v74 :: v_dual_fmamk_f32 v60, v40, 0x3f7d64f0, v66
	v_fmac_f32_e32 v66, 0xbf7d64f0, v40
	v_fmac_f32_e32 v64, 0xbf68dda4, v37
	s_delay_alu instid0(VALU_DEP_3) | instskip(NEXT) | instid1(VALU_DEP_1)
	v_add_f32_e32 v49, v68, v69
	v_add_f32_e32 v49, v53, v49
	v_dual_add_f32 v53, v67, v56 :: v_dual_mul_f32 v54, 0x3f575c64, v54
	s_delay_alu instid0(VALU_DEP_1) | instskip(NEXT) | instid1(VALU_DEP_2)
	v_add_f32_e32 v49, v53, v49
	v_dual_add_f32 v53, v63, v57 :: v_dual_fmamk_f32 v62, v38, 0x3f0a6770, v54
	s_delay_alu instid0(VALU_DEP_1) | instskip(NEXT) | instid1(VALU_DEP_1)
	v_dual_add_f32 v49, v53, v49 :: v_dual_add_f32 v62, v30, v62
	v_add_f32_e32 v56, v65, v62
	s_delay_alu instid0(VALU_DEP_1) | instskip(NEXT) | instid1(VALU_DEP_1)
	v_add_f32_e32 v56, v60, v56
	v_add_f32_e32 v18, v19, v56
	v_fmamk_f32 v19, v35, 0x3f575c64, v45
	s_delay_alu instid0(VALU_DEP_1) | instskip(NEXT) | instid1(VALU_DEP_1)
	v_add_f32_e32 v19, v29, v19
	v_add_f32_e32 v19, v23, v19
	v_mul_f32_e32 v23, 0xbf4178ce, v48
	v_dual_mul_f32 v20, 0xbf75a155, v55 :: v_dual_add_f32 v15, v16, v12
	v_fmamk_f32 v16, v39, 0xbe11bafb, v17
	s_delay_alu instid0(VALU_DEP_2) | instskip(NEXT) | instid1(VALU_DEP_2)
	v_dual_fmamk_f32 v22, v44, 0x3e903f40, v20 :: v_dual_add_f32 v13, v15, v14
	v_dual_add_f32 v14, v16, v19 :: v_dual_fmamk_f32 v15, v41, 0xbf27a4f4, v23
	v_mul_f32_e32 v16, 0xbe903f40, v51
	s_delay_alu instid0(VALU_DEP_3) | instskip(NEXT) | instid1(VALU_DEP_3)
	v_add_f32_e32 v12, v22, v18
	v_dual_add_f32 v11, v15, v14 :: v_dual_add_f32 v8, v13, v8
	s_delay_alu instid0(VALU_DEP_3)
	v_fmamk_f32 v13, v43, 0xbf75a155, v16
	v_fmac_f32_e32 v78, 0x3f0a6770, v37
	v_fma_f32 v14, 0xbe11bafb, v36, -v96
	v_fma_f32 v15, 0x3ed4b147, v36, -v21
	v_add_f32_e32 v8, v8, v10
	v_fma_f32 v10, 0xbf75a155, v35, -v81
	v_add_f32_e32 v11, v13, v11
	v_add_f32_e32 v5, v5, v7
	s_delay_alu instid0(VALU_DEP_4) | instskip(NEXT) | instid1(VALU_DEP_4)
	v_dual_add_f32 v7, v78, v9 :: v_dual_add_f32 v4, v8, v4
	v_dual_add_f32 v8, v29, v10 :: v_dual_fmac_f32 v79, 0xbf4178ce, v40
	v_fma_f32 v9, 0x3f575c64, v36, -v83
	v_fmac_f32_e32 v88, 0xbf4178ce, v38
	s_delay_alu instid0(VALU_DEP_4) | instskip(SKIP_1) | instid1(VALU_DEP_4)
	v_add_f32_e32 v4, v4, v6
	v_fma_f32 v10, 0x3ed4b147, v41, -v86
	v_dual_add_f32 v6, v79, v7 :: v_dual_add_f32 v7, v9, v8
	s_delay_alu instid0(VALU_DEP_4) | instskip(SKIP_4) | instid1(VALU_DEP_3)
	v_add_f32_e32 v9, v30, v88
	v_fma_f32 v8, 0xbf27a4f4, v39, -v85
	v_fmac_f32_e32 v87, 0x3f7d64f0, v37
	v_fmac_f32_e32 v80, 0x3f68dda4, v42
	v_fma_f32 v16, 0xbf75a155, v43, -v16
	v_dual_add_f32 v8, v8, v7 :: v_dual_add_f32 v9, v87, v9
	s_delay_alu instid0(VALU_DEP_3) | instskip(SKIP_1) | instid1(VALU_DEP_3)
	v_add_f32_e32 v6, v80, v6
	v_fmac_f32_e32 v82, 0xbf7d64f0, v44
	v_add_f32_e32 v8, v10, v8
	v_fma_f32 v10, 0xbe11bafb, v43, -v89
	v_add_f32_e32 v9, v93, v9
	s_delay_alu instid0(VALU_DEP_4) | instskip(SKIP_1) | instid1(VALU_DEP_1)
	v_add_f32_e32 v7, v82, v6
	v_fma_f32 v6, 0xbf27a4f4, v35, -v92
	v_dual_add_f32 v13, v29, v6 :: v_dual_add_f32 v6, v10, v8
	s_delay_alu instid0(VALU_DEP_4) | instskip(SKIP_2) | instid1(VALU_DEP_4)
	v_add_f32_e32 v8, v97, v9
	v_fma_f32 v9, 0x3f575c64, v35, -v45
	v_fmac_f32_e32 v54, 0xbf0a6770, v38
	v_add_f32_e32 v10, v14, v13
	v_fma_f32 v13, 0x3f575c64, v39, -v94
	s_delay_alu instid0(VALU_DEP_3) | instskip(NEXT) | instid1(VALU_DEP_1)
	v_dual_add_f32 v9, v29, v9 :: v_dual_add_f32 v14, v30, v54
	v_dual_add_f32 v9, v15, v9 :: v_dual_add_f32 v14, v64, v14
	v_fma_f32 v15, 0xbe11bafb, v39, -v17
	s_delay_alu instid0(VALU_DEP_4) | instskip(SKIP_2) | instid1(VALU_DEP_4)
	v_add_f32_e32 v10, v13, v10
	v_fma_f32 v13, 0xbf75a155, v41, -v98
	v_mul_u32_u24_e32 v17, 0x50, v24
	v_add_f32_e32 v9, v15, v9
	v_fma_f32 v15, 0x3ed4b147, v43, -v99
	s_delay_alu instid0(VALU_DEP_4) | instskip(SKIP_3) | instid1(VALU_DEP_3)
	v_add_f32_e32 v10, v13, v10
	v_add_f32_e32 v13, v66, v14
	v_fma_f32 v14, 0xbf27a4f4, v41, -v23
	v_add3_u32 v17, v34, v17, v32
	v_add_f32_e32 v13, v52, v13
	s_delay_alu instid0(VALU_DEP_3) | instskip(SKIP_3) | instid1(VALU_DEP_3)
	v_add_f32_e32 v18, v14, v9
	v_fmac_f32_e32 v20, 0xbe903f40, v44
	v_add_f32_e32 v9, v91, v8
	v_add_f32_e32 v8, v15, v10
	;; [unrolled: 1-line block ×4, first 2 shown]
	ds_store_2addr_b64 v17, v[4:5], v[11:12] offset1:1
	ds_store_2addr_b64 v17, v[49:50], v[58:59] offset0:2 offset1:3
	ds_store_2addr_b64 v17, v[70:71], v[75:76] offset0:4 offset1:5
	ds_store_2addr_b64 v17, v[6:7], v[8:9] offset0:6 offset1:7
	ds_store_2addr_b64 v17, v[0:1], v[2:3] offset0:8 offset1:9
	ds_store_b64 v17, v[13:14] offset:80
.LBB0_20:
	s_wait_alu 0xfffe
	s_or_b32 exec_lo, exec_lo, s2
	global_wb scope:SCOPE_SE
	s_wait_dscnt 0x0
	s_barrier_signal -1
	s_barrier_wait -1
	global_inv scope:SCOPE_SE
	ds_load_2addr_b64 v[4:7], v25 offset0:66 offset1:99
	ds_load_2addr_b64 v[8:11], v25 offset0:22 offset1:44
	;; [unrolled: 1-line block ×3, first 2 shown]
	ds_load_b64 v[18:19], v33
	ds_load_b64 v[16:17], v25 offset:1320
	s_and_saveexec_b32 s1, s0
	s_cbranch_execz .LBB0_22
; %bb.21:
	ds_load_2addr_b64 v[0:3], v25 offset0:88 offset1:187
.LBB0_22:
	s_wait_alu 0xfffe
	s_or_b32 exec_lo, exec_lo, s1
	v_add_nc_u16 v30, v24, 44
	v_add_nc_u16 v29, v24, 22
	;; [unrolled: 1-line block ×3, first 2 shown]
	v_add_nc_u32_e32 v38, -11, v24
	s_delay_alu instid0(VALU_DEP_4) | instskip(NEXT) | instid1(VALU_DEP_4)
	v_and_b32_e32 v21, 0xff, v30
	v_and_b32_e32 v20, 0xff, v29
	s_delay_alu instid0(VALU_DEP_4) | instskip(NEXT) | instid1(VALU_DEP_3)
	v_and_b32_e32 v22, 0xff, v34
	v_mul_lo_u16 v21, 0x75, v21
	s_delay_alu instid0(VALU_DEP_2) | instskip(NEXT) | instid1(VALU_DEP_2)
	v_mul_lo_u16 v22, 0x75, v22
	v_lshrrev_b16 v35, 8, v21
	s_delay_alu instid0(VALU_DEP_2) | instskip(NEXT) | instid1(VALU_DEP_2)
	v_lshrrev_b16 v36, 8, v22
	v_sub_nc_u16 v21, v30, v35
	s_delay_alu instid0(VALU_DEP_2) | instskip(NEXT) | instid1(VALU_DEP_2)
	v_sub_nc_u16 v22, v34, v36
	v_lshrrev_b16 v37, 1, v21
	v_mov_b32_e32 v21, 0
	v_mul_lo_u16 v20, 0x75, v20
	s_delay_alu instid0(VALU_DEP_4) | instskip(NEXT) | instid1(VALU_DEP_2)
	v_lshrrev_b16 v22, 1, v22
	v_lshrrev_b16 v23, 8, v20
	s_delay_alu instid0(VALU_DEP_1) | instskip(NEXT) | instid1(VALU_DEP_1)
	v_sub_nc_u16 v20, v29, v23
	v_lshrrev_b16 v20, 1, v20
	s_delay_alu instid0(VALU_DEP_1) | instskip(SKIP_2) | instid1(VALU_DEP_3)
	v_and_b32_e32 v39, 0x7f, v20
	v_cndmask_b32_e64 v20, v38, v24, s0
	v_and_b32_e32 v38, 0x7f, v22
	v_add_nc_u16 v39, v39, v23
	s_delay_alu instid0(VALU_DEP_3) | instskip(SKIP_1) | instid1(VALU_DEP_4)
	v_lshlrev_b64_e32 v[22:23], 3, v[20:21]
	v_lshlrev_b32_e32 v20, 3, v20
	v_add_nc_u16 v36, v38, v36
	s_delay_alu instid0(VALU_DEP_4) | instskip(NEXT) | instid1(VALU_DEP_4)
	v_lshrrev_b16 v38, 3, v39
	v_add_co_u32 v22, s1, s4, v22
	s_wait_alu 0xf1ff
	v_add_co_ci_u32_e64 v23, s1, s5, v23, s1
	v_cmp_lt_u32_e64 s1, 10, v24
	v_lshrrev_b16 v40, 3, v36
	global_load_b64 v[22:23], v[22:23], off
	s_wait_alu 0xf1ff
	v_cndmask_b32_e64 v44, 0, 0xb0, s1
	s_delay_alu instid0(VALU_DEP_1) | instskip(NEXT) | instid1(VALU_DEP_1)
	v_add_nc_u32_e32 v44, 0, v44
	v_add3_u32 v20, v44, v20, v32
	s_wait_loadcnt_dscnt 0x4
	v_mul_f32_e32 v44, v23, v7
	v_mul_f32_e32 v23, v23, v6
	s_delay_alu instid0(VALU_DEP_2) | instskip(NEXT) | instid1(VALU_DEP_2)
	v_dual_fmac_f32 v44, v22, v6 :: v_dual_and_b32 v37, 0x7f, v37
	v_fma_f32 v7, v22, v7, -v23
	s_wait_dscnt 0x1
	s_delay_alu instid0(VALU_DEP_2) | instskip(NEXT) | instid1(VALU_DEP_3)
	v_sub_f32_e32 v6, v18, v44
	v_add_nc_u16 v35, v37, v35
	v_mul_lo_u16 v37, v40, 11
	v_dual_sub_f32 v7, v19, v7 :: v_dual_and_b32 v40, 0xffff, v40
	s_delay_alu instid0(VALU_DEP_4) | instskip(NEXT) | instid1(VALU_DEP_4)
	v_fma_f32 v18, v18, 2.0, -v6
	v_lshrrev_b16 v39, 3, v35
	v_mul_lo_u16 v35, v38, 11
	v_sub_nc_u16 v34, v34, v37
	v_mad_u32_u24 v40, 0xb0, v40, 0
	v_fma_f32 v19, v19, 2.0, -v7
	v_mul_lo_u16 v36, v39, 11
	v_sub_nc_u16 v29, v29, v35
	v_and_b32_e32 v34, 0xff, v34
	s_delay_alu instid0(VALU_DEP_3) | instskip(NEXT) | instid1(VALU_DEP_3)
	v_sub_nc_u16 v30, v30, v36
	v_and_b32_e32 v29, 0xff, v29
	s_delay_alu instid0(VALU_DEP_3) | instskip(NEXT) | instid1(VALU_DEP_3)
	v_lshlrev_b32_e32 v43, 3, v34
	v_and_b32_e32 v30, 0xff, v30
	s_delay_alu instid0(VALU_DEP_3) | instskip(NEXT) | instid1(VALU_DEP_2)
	v_lshlrev_b32_e32 v41, 3, v29
	v_lshlrev_b32_e32 v42, 3, v30
	s_clause 0x2
	global_load_b64 v[29:30], v41, s[4:5]
	global_load_b64 v[34:35], v42, s[4:5]
	;; [unrolled: 1-line block ×3, first 2 shown]
	v_and_b32_e32 v39, 0xffff, v39
	v_and_b32_e32 v38, 0xffff, v38
	global_wb scope:SCOPE_SE
	s_wait_loadcnt_dscnt 0x0
	s_barrier_signal -1
	s_barrier_wait -1
	v_mad_u32_u24 v39, 0xb0, v39, 0
	v_mad_u32_u24 v38, 0xb0, v38, 0
	global_inv scope:SCOPE_SE
	v_add3_u32 v23, v39, v42, v32
	v_add3_u32 v22, v38, v41, v32
	v_mul_f32_e32 v39, v30, v13
	v_dual_mul_f32 v30, v30, v12 :: v_dual_mul_f32 v41, v37, v17
	v_mul_f32_e32 v37, v37, v16
	s_delay_alu instid0(VALU_DEP_3) | instskip(NEXT) | instid1(VALU_DEP_3)
	v_fmac_f32_e32 v39, v29, v12
	v_fma_f32 v13, v29, v13, -v30
	s_delay_alu instid0(VALU_DEP_4) | instskip(NEXT) | instid1(VALU_DEP_4)
	v_fmac_f32_e32 v41, v36, v16
	v_fma_f32 v17, v36, v17, -v37
	s_delay_alu instid0(VALU_DEP_4)
	v_sub_f32_e32 v12, v8, v39
	v_add3_u32 v38, v40, v43, v32
	v_mul_f32_e32 v40, v35, v15
	v_mul_f32_e32 v35, v35, v14
	v_sub_f32_e32 v13, v9, v13
	v_sub_f32_e32 v16, v4, v41
	s_delay_alu instid0(VALU_DEP_4) | instskip(NEXT) | instid1(VALU_DEP_4)
	v_dual_sub_f32 v17, v5, v17 :: v_dual_fmac_f32 v40, v34, v14
	v_fma_f32 v15, v34, v15, -v35
	v_fma_f32 v8, v8, 2.0, -v12
	v_fma_f32 v9, v9, 2.0, -v13
	;; [unrolled: 1-line block ×3, first 2 shown]
	s_delay_alu instid0(VALU_DEP_4) | instskip(SKIP_1) | instid1(VALU_DEP_2)
	v_dual_sub_f32 v14, v10, v40 :: v_dual_sub_f32 v15, v11, v15
	v_fma_f32 v5, v5, 2.0, -v17
	v_fma_f32 v10, v10, 2.0, -v14
	s_delay_alu instid0(VALU_DEP_3)
	v_fma_f32 v11, v11, 2.0, -v15
	ds_store_2addr_b64 v20, v[18:19], v[6:7] offset1:11
	ds_store_2addr_b64 v22, v[8:9], v[12:13] offset1:11
	;; [unrolled: 1-line block ×4, first 2 shown]
	s_and_saveexec_b32 s1, s0
	s_cbranch_execz .LBB0_24
; %bb.23:
	v_add_nc_u16 v4, v24, 0x58
	s_delay_alu instid0(VALU_DEP_1) | instskip(NEXT) | instid1(VALU_DEP_1)
	v_and_b32_e32 v5, 0xff, v4
	v_mul_lo_u16 v5, 0x75, v5
	s_delay_alu instid0(VALU_DEP_1) | instskip(NEXT) | instid1(VALU_DEP_1)
	v_lshrrev_b16 v5, 8, v5
	v_sub_nc_u16 v6, v4, v5
	s_delay_alu instid0(VALU_DEP_1) | instskip(NEXT) | instid1(VALU_DEP_1)
	v_lshrrev_b16 v6, 1, v6
	v_and_b32_e32 v6, 0x7f, v6
	s_delay_alu instid0(VALU_DEP_1) | instskip(NEXT) | instid1(VALU_DEP_1)
	v_add_nc_u16 v5, v6, v5
	v_lshrrev_b16 v5, 3, v5
	s_delay_alu instid0(VALU_DEP_1) | instskip(NEXT) | instid1(VALU_DEP_1)
	v_mul_lo_u16 v5, v5, 11
	v_sub_nc_u16 v4, v4, v5
	s_delay_alu instid0(VALU_DEP_1) | instskip(NEXT) | instid1(VALU_DEP_1)
	v_and_b32_e32 v4, 0xff, v4
	v_lshlrev_b32_e32 v6, 3, v4
	global_load_b64 v[4:5], v6, s[4:5]
	s_wait_loadcnt 0x0
	v_mul_f32_e32 v7, v2, v5
	v_mul_f32_e32 v5, v3, v5
	s_delay_alu instid0(VALU_DEP_2) | instskip(NEXT) | instid1(VALU_DEP_2)
	v_fma_f32 v3, v3, v4, -v7
	v_fmac_f32_e32 v5, v2, v4
	s_delay_alu instid0(VALU_DEP_1) | instskip(SKIP_1) | instid1(VALU_DEP_2)
	v_dual_sub_f32 v3, v1, v3 :: v_dual_sub_f32 v2, v0, v5
	v_add3_u32 v4, 0, v6, v32
	v_fma_f32 v1, v1, 2.0, -v3
	s_delay_alu instid0(VALU_DEP_3)
	v_fma_f32 v0, v0, 2.0, -v2
	ds_store_2addr_b64 v4, v[0:1], v[2:3] offset0:176 offset1:187
.LBB0_24:
	s_wait_alu 0xfffe
	s_or_b32 exec_lo, exec_lo, s1
	v_mov_b32_e32 v29, v21
	global_wb scope:SCOPE_SE
	s_wait_dscnt 0x0
	s_barrier_signal -1
	s_barrier_wait -1
	global_inv scope:SCOPE_SE
	v_lshlrev_b64_e32 v[0:1], 3, v[28:29]
	s_delay_alu instid0(VALU_DEP_1) | instskip(SKIP_1) | instid1(VALU_DEP_2)
	v_add_co_u32 v12, s0, s4, v0
	s_wait_alu 0xf1ff
	v_add_co_ci_u32_e64 v13, s0, s5, v1, s0
	s_clause 0x3
	global_load_b128 v[0:3], v[12:13], off offset:88
	global_load_b128 v[4:7], v[12:13], off offset:104
	;; [unrolled: 1-line block ×4, first 2 shown]
	ds_load_2addr_b64 v[16:19], v25 offset0:22 offset1:44
	ds_load_2addr_b64 v[20:23], v25 offset0:66 offset1:88
	;; [unrolled: 1-line block ×4, first 2 shown]
	ds_load_b64 v[28:29], v33
	global_wb scope:SCOPE_SE
	s_wait_loadcnt_dscnt 0x0
	s_barrier_signal -1
	s_barrier_wait -1
	global_inv scope:SCOPE_SE
	v_mul_f32_e32 v32, v3, v19
	v_dual_mul_f32 v30, v1, v17 :: v_dual_mul_f32 v3, v3, v18
	v_dual_mul_f32 v1, v1, v16 :: v_dual_mul_f32 v42, v7, v23
	s_delay_alu instid0(VALU_DEP_2) | instskip(SKIP_4) | instid1(VALU_DEP_4)
	v_dual_mul_f32 v33, v5, v21 :: v_dual_fmac_f32 v30, v0, v16
	v_dual_mul_f32 v7, v7, v22 :: v_dual_mul_f32 v44, v37, v11
	v_dual_mul_f32 v45, v39, v13 :: v_dual_mul_f32 v46, v41, v15
	v_dual_mul_f32 v5, v5, v20 :: v_dual_fmac_f32 v32, v2, v18
	v_dual_mul_f32 v43, v9, v35 :: v_dual_fmac_f32 v42, v6, v22
	;; [unrolled: 1-line block ×3, first 2 shown]
	s_delay_alu instid0(VALU_DEP_4)
	v_dual_fmac_f32 v46, v40, v14 :: v_dual_fmac_f32 v45, v38, v12
	v_mul_f32_e32 v9, v9, v34
	v_mul_f32_e32 v11, v36, v11
	v_fmac_f32_e32 v33, v4, v20
	v_mul_f32_e32 v15, v40, v15
	v_fma_f32 v0, v0, v17, -v1
	v_fma_f32 v1, v2, v19, -v3
	v_fma_f32 v2, v4, v21, -v5
	v_fma_f32 v3, v6, v23, -v7
	v_fma_f32 v6, v39, v12, -v13
	v_add_f32_e32 v12, v33, v44
	v_fma_f32 v5, v41, v14, -v15
	v_fma_f32 v7, v37, v10, -v11
	v_add_f32_e32 v10, v32, v45
	v_fma_f32 v4, v8, v35, -v9
	v_sub_f32_e32 v14, v30, v46
	v_dual_fmac_f32 v43, v8, v34 :: v_dual_sub_f32 v16, v33, v44
	v_dual_add_f32 v8, v30, v46 :: v_dual_add_f32 v9, v0, v5
	v_add_f32_e32 v11, v1, v6
	s_delay_alu instid0(VALU_DEP_4) | instskip(SKIP_1) | instid1(VALU_DEP_4)
	v_dual_add_f32 v13, v2, v7 :: v_dual_mul_f32 v20, 0x3f248dbb, v14
	v_sub_f32_e32 v2, v2, v7
	v_dual_sub_f32 v7, v42, v43 :: v_dual_fmamk_f32 v22, v8, 0x3f441b7d, v28
	v_sub_f32_e32 v15, v32, v45
	v_dual_sub_f32 v5, v0, v5 :: v_dual_add_f32 v18, v42, v43
	v_sub_f32_e32 v6, v1, v6
	v_dual_fmamk_f32 v23, v9, 0x3f441b7d, v29 :: v_dual_add_f32 v38, v11, v9
	v_dual_mul_f32 v30, 0xbf248dbb, v7 :: v_dual_sub_f32 v17, v3, v4
	v_dual_fmac_f32 v20, 0x3f7c1c5c, v15 :: v_dual_add_f32 v19, v3, v4
	v_add_f32_e32 v35, v7, v14
	v_dual_mul_f32 v21, 0x3f248dbb, v5 :: v_dual_add_f32 v0, v12, v28
	s_delay_alu instid0(VALU_DEP_4) | instskip(NEXT) | instid1(VALU_DEP_4)
	v_mul_f32_e32 v32, 0xbf248dbb, v17
	v_dual_fmamk_f32 v33, v18, 0x3f441b7d, v28 :: v_dual_fmamk_f32 v34, v19, 0x3f441b7d, v29
	s_delay_alu instid0(VALU_DEP_4)
	v_dual_add_f32 v36, v17, v5 :: v_dual_sub_f32 v35, v35, v15
	v_dual_add_f32 v45, v19, v38 :: v_dual_fmac_f32 v20, 0x3f5db3d7, v16
	v_add_f32_e32 v38, v13, v38
	v_dual_add_f32 v1, v13, v29 :: v_dual_fmac_f32 v22, 0x3e31d0d4, v10
	v_dual_add_f32 v37, v10, v8 :: v_dual_mul_f32 v40, 0x3f7c1c5c, v17
	v_dual_mul_f32 v39, 0x3f7c1c5c, v7 :: v_dual_fmac_f32 v30, 0x3f7c1c5c, v14
	v_dual_fmamk_f32 v41, v10, 0x3f441b7d, v28 :: v_dual_sub_f32 v36, v36, v6
	v_dual_fmac_f32 v21, 0x3f7c1c5c, v6 :: v_dual_fmac_f32 v32, 0x3f7c1c5c, v5
	v_dual_fmac_f32 v23, 0x3e31d0d4, v11 :: v_dual_fmac_f32 v34, 0x3e31d0d4, v9
	v_dual_fmac_f32 v33, 0x3e31d0d4, v8 :: v_dual_add_f32 v44, v18, v37
	v_dual_add_f32 v3, v3, v38 :: v_dual_fmac_f32 v20, 0x3eaf1d44, v7
	v_fma_f32 v39, 0xbf248dbb, v15, -v39
	v_fma_f32 v40, 0xbf248dbb, v6, -v40
	v_dual_add_f32 v37, v12, v37 :: v_dual_fmac_f32 v22, -0.5, v12
	v_dual_fmac_f32 v41, 0x3e31d0d4, v18 :: v_dual_fmac_f32 v34, -0.5, v13
	v_dual_fmac_f32 v21, 0x3f5db3d7, v2 :: v_dual_mul_f32 v46, 0x3f5db3d7, v35
	v_dual_fmac_f32 v23, -0.5, v13 :: v_dual_fmac_f32 v30, 0xbf5db3d7, v16
	v_dual_fmac_f32 v32, 0xbf5db3d7, v2 :: v_dual_fmac_f32 v33, -0.5, v12
	v_add_f32_e32 v3, v4, v3
	v_dual_mul_f32 v47, 0x3f5db3d7, v36 :: v_dual_fmac_f32 v40, 0x3f5db3d7, v2
	v_dual_fmac_f32 v0, -0.5, v44 :: v_dual_fmac_f32 v1, -0.5, v45
	v_dual_fmac_f32 v39, 0x3f5db3d7, v16 :: v_dual_add_f32 v2, v42, v37
	v_dual_fmac_f32 v41, -0.5, v12 :: v_dual_fmac_f32 v22, 0xbf708fb2, v18
	v_dual_fmac_f32 v21, 0x3eaf1d44, v17 :: v_dual_fmac_f32 v30, 0x3eaf1d44, v15
	v_dual_fmac_f32 v32, 0x3eaf1d44, v6 :: v_dual_add_f32 v3, v29, v3
	v_fmac_f32_e32 v0, 0xbf5db3d7, v36
	s_delay_alu instid0(VALU_DEP_3) | instskip(SKIP_2) | instid1(VALU_DEP_3)
	v_dual_fmac_f32 v29, 0x3f441b7d, v11 :: v_dual_sub_f32 v4, v22, v21
	v_dual_fmac_f32 v23, 0xbf708fb2, v19 :: v_dual_add_f32 v2, v43, v2
	v_dual_fmac_f32 v39, 0x3eaf1d44, v14 :: v_dual_fmac_f32 v40, 0x3eaf1d44, v5
	v_fmac_f32_e32 v29, 0x3e31d0d4, v19
	s_delay_alu instid0(VALU_DEP_3) | instskip(SKIP_1) | instid1(VALU_DEP_2)
	v_dual_fmac_f32 v41, 0xbf708fb2, v8 :: v_dual_add_f32 v2, v28, v2
	v_dual_fmac_f32 v33, 0xbf708fb2, v10 :: v_dual_fmac_f32 v34, 0xbf708fb2, v11
	v_dual_fmac_f32 v29, -0.5, v13 :: v_dual_sub_f32 v10, v41, v40
	s_delay_alu instid0(VALU_DEP_2) | instskip(NEXT) | instid1(VALU_DEP_3)
	v_dual_fmac_f32 v1, 0x3f5db3d7, v35 :: v_dual_sub_f32 v6, v33, v32
	v_add_f32_e32 v7, v30, v34
	s_delay_alu instid0(VALU_DEP_3)
	v_fmac_f32_e32 v29, 0xbf708fb2, v9
	v_add_f32_e32 v5, v20, v23
	v_fma_f32 v8, 2.0, v47, v0
	v_fma_f32 v9, -2.0, v46, v1
	v_fma_f32 v14, 2.0, v32, v6
	v_add_f32_e32 v11, v39, v29
	v_fma_f32 v15, -2.0, v30, v7
	v_fma_f32 v12, 2.0, v21, v4
	v_fma_f32 v13, -2.0, v20, v5
	v_fma_f32 v16, 2.0, v40, v10
	v_fma_f32 v17, -2.0, v39, v11
	ds_store_2addr_b64 v25, v[2:3], v[4:5] offset1:22
	ds_store_2addr_b64 v25, v[6:7], v[0:1] offset0:44 offset1:66
	ds_store_2addr_b64 v25, v[8:9], v[14:15] offset0:132 offset1:154
	ds_store_b64 v25, v[12:13] offset:1408
	ds_store_2addr_b64 v25, v[10:11], v[16:17] offset0:88 offset1:110
	global_wb scope:SCOPE_SE
	s_wait_dscnt 0x0
	s_barrier_signal -1
	s_barrier_wait -1
	global_inv scope:SCOPE_SE
	s_and_saveexec_b32 s0, vcc_lo
	s_cbranch_execz .LBB0_26
; %bb.25:
	v_dual_mov_b32 v25, 0 :: v_dual_add_nc_u32 v6, 22, v24
	v_lshl_add_u32 v18, v24, 3, v31
	v_add_co_u32 v20, vcc_lo, s8, v26
	s_delay_alu instid0(VALU_DEP_3)
	v_lshlrev_b64_e32 v[4:5], 3, v[24:25]
	s_wait_alu 0xfffd
	v_add_co_ci_u32_e32 v21, vcc_lo, s9, v27, vcc_lo
	v_dual_mov_b32 v7, v25 :: v_dual_add_nc_u32 v8, 44, v24
	ds_load_2addr_b64 v[0:3], v18 offset1:22
	v_add_co_u32 v10, vcc_lo, v20, v4
	v_dual_mov_b32 v9, v25 :: v_dual_add_nc_u32 v14, 0x42, v24
	s_wait_alu 0xfffd
	v_add_co_ci_u32_e32 v11, vcc_lo, v21, v5, vcc_lo
	v_lshlrev_b64_e32 v[12:13], 3, v[6:7]
	ds_load_2addr_b64 v[4:7], v18 offset0:44 offset1:66
	v_dual_mov_b32 v15, v25 :: v_dual_add_nc_u32 v16, 0x58, v24
	v_lshlrev_b64_e32 v[8:9], 3, v[8:9]
	v_mov_b32_e32 v17, v25
	v_add_co_u32 v12, vcc_lo, v20, v12
	s_delay_alu instid0(VALU_DEP_4)
	v_lshlrev_b64_e32 v[14:15], 3, v[14:15]
	s_wait_alu 0xfffd
	v_add_co_ci_u32_e32 v13, vcc_lo, v21, v13, vcc_lo
	v_add_co_u32 v8, vcc_lo, v20, v8
	s_wait_alu 0xfffd
	v_add_co_ci_u32_e32 v9, vcc_lo, v21, v9, vcc_lo
	v_add_co_u32 v14, vcc_lo, v20, v14
	s_wait_alu 0xfffd
	v_add_co_ci_u32_e32 v15, vcc_lo, v21, v15, vcc_lo
	s_wait_dscnt 0x1
	s_clause 0x1
	global_store_b64 v[10:11], v[0:1], off
	global_store_b64 v[12:13], v[2:3], off
	s_wait_dscnt 0x0
	s_clause 0x1
	global_store_b64 v[8:9], v[4:5], off
	global_store_b64 v[14:15], v[6:7], off
	v_add_nc_u32_e32 v6, 0x6e, v24
	v_lshlrev_b64_e32 v[4:5], 3, v[16:17]
	v_dual_mov_b32 v7, v25 :: v_dual_add_nc_u32 v8, 0x84, v24
	ds_load_2addr_b64 v[0:3], v18 offset0:88 offset1:110
	v_dual_mov_b32 v9, v25 :: v_dual_add_nc_u32 v14, 0x9a, v24
	v_add_co_u32 v10, vcc_lo, v20, v4
	s_wait_alu 0xfffd
	v_add_co_ci_u32_e32 v11, vcc_lo, v21, v5, vcc_lo
	v_lshlrev_b64_e32 v[12:13], 3, v[6:7]
	ds_load_2addr_b64 v[4:7], v18 offset0:132 offset1:154
	v_dual_mov_b32 v15, v25 :: v_dual_add_nc_u32 v24, 0xb0, v24
	ds_load_b64 v[16:17], v18 offset:1408
	v_lshlrev_b64_e32 v[8:9], 3, v[8:9]
	v_add_co_u32 v12, vcc_lo, v20, v12
	v_lshlrev_b64_e32 v[14:15], 3, v[14:15]
	s_wait_alu 0xfffd
	v_add_co_ci_u32_e32 v13, vcc_lo, v21, v13, vcc_lo
	s_delay_alu instid0(VALU_DEP_4)
	v_add_co_u32 v8, vcc_lo, v20, v8
	v_lshlrev_b64_e32 v[18:19], 3, v[24:25]
	s_wait_alu 0xfffd
	v_add_co_ci_u32_e32 v9, vcc_lo, v21, v9, vcc_lo
	v_add_co_u32 v14, vcc_lo, v20, v14
	s_wait_alu 0xfffd
	v_add_co_ci_u32_e32 v15, vcc_lo, v21, v15, vcc_lo
	v_add_co_u32 v18, vcc_lo, v20, v18
	s_wait_alu 0xfffd
	v_add_co_ci_u32_e32 v19, vcc_lo, v21, v19, vcc_lo
	s_wait_dscnt 0x2
	s_clause 0x1
	global_store_b64 v[10:11], v[0:1], off
	global_store_b64 v[12:13], v[2:3], off
	s_wait_dscnt 0x1
	s_clause 0x1
	global_store_b64 v[8:9], v[4:5], off
	global_store_b64 v[14:15], v[6:7], off
	s_wait_dscnt 0x0
	global_store_b64 v[18:19], v[16:17], off
.LBB0_26:
	s_nop 0
	s_sendmsg sendmsg(MSG_DEALLOC_VGPRS)
	s_endpgm
	.section	.rodata,"a",@progbits
	.p2align	6, 0x0
	.amdhsa_kernel fft_rtc_back_len198_factors_11_2_9_wgs_110_tpt_22_sp_ip_CI_unitstride_sbrr_C2R_dirReg
		.amdhsa_group_segment_fixed_size 0
		.amdhsa_private_segment_fixed_size 0
		.amdhsa_kernarg_size 88
		.amdhsa_user_sgpr_count 2
		.amdhsa_user_sgpr_dispatch_ptr 0
		.amdhsa_user_sgpr_queue_ptr 0
		.amdhsa_user_sgpr_kernarg_segment_ptr 1
		.amdhsa_user_sgpr_dispatch_id 0
		.amdhsa_user_sgpr_private_segment_size 0
		.amdhsa_wavefront_size32 1
		.amdhsa_uses_dynamic_stack 0
		.amdhsa_enable_private_segment 0
		.amdhsa_system_sgpr_workgroup_id_x 1
		.amdhsa_system_sgpr_workgroup_id_y 0
		.amdhsa_system_sgpr_workgroup_id_z 0
		.amdhsa_system_sgpr_workgroup_info 0
		.amdhsa_system_vgpr_workitem_id 0
		.amdhsa_next_free_vgpr 103
		.amdhsa_next_free_sgpr 32
		.amdhsa_reserve_vcc 1
		.amdhsa_float_round_mode_32 0
		.amdhsa_float_round_mode_16_64 0
		.amdhsa_float_denorm_mode_32 3
		.amdhsa_float_denorm_mode_16_64 3
		.amdhsa_fp16_overflow 0
		.amdhsa_workgroup_processor_mode 1
		.amdhsa_memory_ordered 1
		.amdhsa_forward_progress 0
		.amdhsa_round_robin_scheduling 0
		.amdhsa_exception_fp_ieee_invalid_op 0
		.amdhsa_exception_fp_denorm_src 0
		.amdhsa_exception_fp_ieee_div_zero 0
		.amdhsa_exception_fp_ieee_overflow 0
		.amdhsa_exception_fp_ieee_underflow 0
		.amdhsa_exception_fp_ieee_inexact 0
		.amdhsa_exception_int_div_zero 0
	.end_amdhsa_kernel
	.text
.Lfunc_end0:
	.size	fft_rtc_back_len198_factors_11_2_9_wgs_110_tpt_22_sp_ip_CI_unitstride_sbrr_C2R_dirReg, .Lfunc_end0-fft_rtc_back_len198_factors_11_2_9_wgs_110_tpt_22_sp_ip_CI_unitstride_sbrr_C2R_dirReg
                                        ; -- End function
	.section	.AMDGPU.csdata,"",@progbits
; Kernel info:
; codeLenInByte = 7776
; NumSgprs: 34
; NumVgprs: 103
; ScratchSize: 0
; MemoryBound: 0
; FloatMode: 240
; IeeeMode: 1
; LDSByteSize: 0 bytes/workgroup (compile time only)
; SGPRBlocks: 4
; VGPRBlocks: 12
; NumSGPRsForWavesPerEU: 34
; NumVGPRsForWavesPerEU: 103
; Occupancy: 12
; WaveLimiterHint : 1
; COMPUTE_PGM_RSRC2:SCRATCH_EN: 0
; COMPUTE_PGM_RSRC2:USER_SGPR: 2
; COMPUTE_PGM_RSRC2:TRAP_HANDLER: 0
; COMPUTE_PGM_RSRC2:TGID_X_EN: 1
; COMPUTE_PGM_RSRC2:TGID_Y_EN: 0
; COMPUTE_PGM_RSRC2:TGID_Z_EN: 0
; COMPUTE_PGM_RSRC2:TIDIG_COMP_CNT: 0
	.text
	.p2alignl 7, 3214868480
	.fill 96, 4, 3214868480
	.type	__hip_cuid_82462066cd639349,@object ; @__hip_cuid_82462066cd639349
	.section	.bss,"aw",@nobits
	.globl	__hip_cuid_82462066cd639349
__hip_cuid_82462066cd639349:
	.byte	0                               ; 0x0
	.size	__hip_cuid_82462066cd639349, 1

	.ident	"AMD clang version 19.0.0git (https://github.com/RadeonOpenCompute/llvm-project roc-6.4.0 25133 c7fe45cf4b819c5991fe208aaa96edf142730f1d)"
	.section	".note.GNU-stack","",@progbits
	.addrsig
	.addrsig_sym __hip_cuid_82462066cd639349
	.amdgpu_metadata
---
amdhsa.kernels:
  - .args:
      - .actual_access:  read_only
        .address_space:  global
        .offset:         0
        .size:           8
        .value_kind:     global_buffer
      - .offset:         8
        .size:           8
        .value_kind:     by_value
      - .actual_access:  read_only
        .address_space:  global
        .offset:         16
        .size:           8
        .value_kind:     global_buffer
      - .actual_access:  read_only
        .address_space:  global
        .offset:         24
        .size:           8
        .value_kind:     global_buffer
      - .offset:         32
        .size:           8
        .value_kind:     by_value
      - .actual_access:  read_only
        .address_space:  global
        .offset:         40
        .size:           8
        .value_kind:     global_buffer
      - .actual_access:  read_only
        .address_space:  global
        .offset:         48
        .size:           8
        .value_kind:     global_buffer
      - .offset:         56
        .size:           4
        .value_kind:     by_value
      - .actual_access:  read_only
        .address_space:  global
        .offset:         64
        .size:           8
        .value_kind:     global_buffer
      - .actual_access:  read_only
        .address_space:  global
        .offset:         72
        .size:           8
        .value_kind:     global_buffer
      - .address_space:  global
        .offset:         80
        .size:           8
        .value_kind:     global_buffer
    .group_segment_fixed_size: 0
    .kernarg_segment_align: 8
    .kernarg_segment_size: 88
    .language:       OpenCL C
    .language_version:
      - 2
      - 0
    .max_flat_workgroup_size: 110
    .name:           fft_rtc_back_len198_factors_11_2_9_wgs_110_tpt_22_sp_ip_CI_unitstride_sbrr_C2R_dirReg
    .private_segment_fixed_size: 0
    .sgpr_count:     34
    .sgpr_spill_count: 0
    .symbol:         fft_rtc_back_len198_factors_11_2_9_wgs_110_tpt_22_sp_ip_CI_unitstride_sbrr_C2R_dirReg.kd
    .uniform_work_group_size: 1
    .uses_dynamic_stack: false
    .vgpr_count:     103
    .vgpr_spill_count: 0
    .wavefront_size: 32
    .workgroup_processor_mode: 1
amdhsa.target:   amdgcn-amd-amdhsa--gfx1201
amdhsa.version:
  - 1
  - 2
...

	.end_amdgpu_metadata
